;; amdgpu-corpus repo=ROCm/rocFFT kind=compiled arch=gfx906 opt=O3
	.text
	.amdgcn_target "amdgcn-amd-amdhsa--gfx906"
	.amdhsa_code_object_version 6
	.protected	bluestein_single_fwd_len343_dim1_dp_op_CI_CI ; -- Begin function bluestein_single_fwd_len343_dim1_dp_op_CI_CI
	.globl	bluestein_single_fwd_len343_dim1_dp_op_CI_CI
	.p2align	8
	.type	bluestein_single_fwd_len343_dim1_dp_op_CI_CI,@function
bluestein_single_fwd_len343_dim1_dp_op_CI_CI: ; @bluestein_single_fwd_len343_dim1_dp_op_CI_CI
; %bb.0:
	v_mul_u32_u24_e32 v1, 0x53a, v0
	s_load_dwordx4 s[16:19], s[4:5], 0x28
	v_lshrrev_b32_e32 v1, 16, v1
	v_mad_u64_u32 v[76:77], s[0:1], s6, 5, v[1:2]
	v_mov_b32_e32 v77, 0
	s_waitcnt lgkmcnt(0)
	v_cmp_gt_u64_e32 vcc, s[16:17], v[76:77]
	s_and_saveexec_b64 s[0:1], vcc
	s_cbranch_execz .LBB0_2
; %bb.1:
	s_load_dwordx4 s[0:3], s[4:5], 0x18
	s_load_dwordx4 s[8:11], s[4:5], 0x0
	v_mul_lo_u16_e32 v1, 49, v1
	v_sub_u16_e32 v79, v0, v1
	v_lshlrev_b32_e32 v75, 4, v79
	s_waitcnt lgkmcnt(0)
	s_load_dwordx4 s[12:15], s[0:1], 0x0
	s_mov_b32 s6, 0x36b3c0b5
	s_mov_b32 s7, 0x3fac98ee
	;; [unrolled: 1-line block ×4, first 2 shown]
	s_waitcnt lgkmcnt(0)
	v_mad_u64_u32 v[0:1], s[0:1], s14, v76, 0
	v_mad_u64_u32 v[2:3], s[0:1], s12, v79, 0
	s_mov_b32 s14, 0xe976ee23
	s_mov_b32 s17, 0xbff2aaaa
	v_mad_u64_u32 v[4:5], s[0:1], s15, v76, v[1:2]
	s_mov_b32 s15, 0xbfe11646
	s_mov_b32 s23, 0xbfe77f67
	v_mad_u64_u32 v[5:6], s[0:1], s13, v79, v[3:4]
	v_mov_b32_e32 v1, v4
	v_lshlrev_b64 v[0:1], 4, v[0:1]
	v_mov_b32_e32 v6, s19
	v_mov_b32_e32 v3, v5
	v_add_co_u32_e32 v4, vcc, s18, v0
	v_addc_co_u32_e32 v5, vcc, v6, v1, vcc
	v_lshlrev_b64 v[0:1], 4, v[2:3]
	v_mov_b32_e32 v2, s9
	v_add_co_u32_e32 v0, vcc, v4, v0
	v_addc_co_u32_e32 v1, vcc, v5, v1, vcc
	v_add_co_u32_e32 v81, vcc, s8, v75
	s_mul_i32 s0, s13, 0x310
	s_mul_hi_u32 s1, s12, 0x310
	v_addc_co_u32_e32 v82, vcc, 0, v2, vcc
	s_add_i32 s0, s1, s0
	s_mul_i32 s1, s12, 0x310
	global_load_dwordx4 v[28:31], v[0:1], off
	v_mov_b32_e32 v2, s0
	v_add_co_u32_e32 v0, vcc, s1, v0
	v_addc_co_u32_e32 v1, vcc, v1, v2, vcc
	v_mov_b32_e32 v3, s0
	v_add_co_u32_e32 v2, vcc, s1, v0
	v_addc_co_u32_e32 v3, vcc, v1, v3, vcc
	global_load_dwordx4 v[24:27], v75, s[8:9]
	global_load_dwordx4 v[12:15], v75, s[8:9] offset:784
	global_load_dwordx4 v[32:35], v[0:1], off
	global_load_dwordx4 v[36:39], v[2:3], off
	v_mov_b32_e32 v1, s0
	v_add_co_u32_e32 v0, vcc, s1, v2
	v_addc_co_u32_e32 v1, vcc, v3, v1, vcc
	v_mov_b32_e32 v3, s0
	v_add_co_u32_e32 v2, vcc, s1, v0
	v_addc_co_u32_e32 v3, vcc, v1, v3, vcc
	global_load_dwordx4 v[16:19], v75, s[8:9] offset:1568
	global_load_dwordx4 v[4:7], v75, s[8:9] offset:2352
	global_load_dwordx4 v[40:43], v[0:1], off
	global_load_dwordx4 v[44:47], v[2:3], off
	v_mov_b32_e32 v0, s0
	v_add_co_u32_e32 v8, vcc, s1, v2
	v_addc_co_u32_e32 v9, vcc, v3, v0, vcc
	v_mov_b32_e32 v10, s0
	v_add_co_u32_e32 v57, vcc, s1, v8
	v_addc_co_u32_e32 v58, vcc, v9, v10, vcc
	s_movk_i32 s0, 0x1000
	v_add_co_u32_e32 v77, vcc, s0, v81
	global_load_dwordx4 v[48:51], v[8:9], off
	global_load_dwordx4 v[20:23], v75, s[8:9] offset:3136
	global_load_dwordx4 v[0:3], v75, s[8:9] offset:3920
	v_addc_co_u32_e32 v78, vcc, 0, v82, vcc
	global_load_dwordx4 v[8:11], v[77:78], off offset:608
	global_load_dwordx4 v[53:56], v[57:58], off
	s_mov_b32 s0, 0xcccccccd
	v_mul_hi_u32 v52, v76, s0
	s_load_dwordx4 s[0:3], s[2:3], 0x0
	s_mov_b32 s8, 0x37e14327
	s_mov_b32 s9, 0x3fe948f6
	v_lshrrev_b32_e32 v52, 2, v52
	v_lshl_add_u32 v52, v52, 2, v52
	v_sub_u32_e32 v52, v76, v52
	v_mul_u32_u24_e32 v52, 0x157, v52
	v_lshlrev_b32_e32 v52, 4, v52
	v_add_u32_e32 v80, v75, v52
	s_mov_b32 s12, 0x429ad128
	s_mov_b32 s13, 0xbfebfeb5
	s_mov_b32 s18, 0x5476071b
	s_mov_b32 s19, 0x3fe77f67
	s_mov_b32 s22, s18
	s_mov_b32 s21, 0x3fd5d0dc
	s_mov_b32 s27, 0xbfd5d0dc
	s_mov_b32 s26, s20
	s_mov_b32 s29, 0x3febfeb5
	s_mov_b32 s28, s12
	s_mov_b32 s25, 0x3fdc38aa
	s_mov_b32 s24, 0x37c3f68c
	s_movk_i32 s30, 0x60
	s_load_dwordx2 s[4:5], s[4:5], 0x38
	s_waitcnt vmcnt(12)
	v_mul_f64 v[57:58], v[30:31], v[26:27]
	v_mul_f64 v[59:60], v[28:29], v[26:27]
	s_waitcnt vmcnt(10)
	v_mul_f64 v[61:62], v[34:35], v[14:15]
	v_mul_f64 v[63:64], v[32:33], v[14:15]
	v_fma_f64 v[28:29], v[28:29], v[24:25], v[57:58]
	v_fma_f64 v[30:31], v[30:31], v[24:25], -v[59:60]
	v_fma_f64 v[32:33], v[32:33], v[12:13], v[61:62]
	v_fma_f64 v[34:35], v[34:35], v[12:13], -v[63:64]
	s_waitcnt vmcnt(8)
	v_mul_f64 v[65:66], v[38:39], v[18:19]
	v_mul_f64 v[67:68], v[36:37], v[18:19]
	s_waitcnt vmcnt(6)
	v_mul_f64 v[69:70], v[42:43], v[6:7]
	v_mul_f64 v[71:72], v[40:41], v[6:7]
	v_fma_f64 v[36:37], v[36:37], v[16:17], v[65:66]
	v_fma_f64 v[38:39], v[38:39], v[16:17], -v[67:68]
	v_fma_f64 v[40:41], v[40:41], v[4:5], v[69:70]
	v_fma_f64 v[42:43], v[42:43], v[4:5], -v[71:72]
	s_waitcnt vmcnt(3)
	v_mul_f64 v[73:74], v[46:47], v[22:23]
	v_mul_f64 v[83:84], v[44:45], v[22:23]
	s_waitcnt vmcnt(2)
	v_mul_f64 v[85:86], v[50:51], v[2:3]
	v_mul_f64 v[87:88], v[48:49], v[2:3]
	;; [unrolled: 3-line block ×3, first 2 shown]
	v_fma_f64 v[44:45], v[44:45], v[20:21], v[73:74]
	v_fma_f64 v[46:47], v[46:47], v[20:21], -v[83:84]
	v_fma_f64 v[48:49], v[48:49], v[0:1], v[85:86]
	v_fma_f64 v[50:51], v[50:51], v[0:1], -v[87:88]
	;; [unrolled: 2-line block ×3, first 2 shown]
	ds_write_b128 v80, v[28:31]
	ds_write_b128 v80, v[32:35] offset:784
	ds_write_b128 v80, v[36:39] offset:1568
	;; [unrolled: 1-line block ×6, first 2 shown]
	s_waitcnt lgkmcnt(0)
	s_barrier
	ds_read_b128 v[28:31], v80
	ds_read_b128 v[32:35], v80 offset:784
	ds_read_b128 v[36:39], v80 offset:4704
	;; [unrolled: 1-line block ×6, first 2 shown]
	s_waitcnt lgkmcnt(4)
	v_add_f64 v[57:58], v[32:33], v[36:37]
	v_add_f64 v[59:60], v[34:35], v[38:39]
	v_add_f64 v[32:33], v[32:33], -v[36:37]
	v_add_f64 v[34:35], v[34:35], -v[38:39]
	s_waitcnt lgkmcnt(0)
	v_add_f64 v[36:37], v[40:41], v[53:54]
	v_add_f64 v[38:39], v[42:43], v[55:56]
	v_add_f64 v[40:41], v[40:41], -v[53:54]
	v_add_f64 v[42:43], v[42:43], -v[55:56]
	v_add_f64 v[53:54], v[44:45], v[48:49]
	v_add_f64 v[55:56], v[46:47], v[50:51]
	v_add_f64 v[44:45], v[48:49], -v[44:45]
	v_add_f64 v[46:47], v[50:51], -v[46:47]
	;; [unrolled: 4-line block ×3, first 2 shown]
	v_add_f64 v[57:58], v[57:58], -v[53:54]
	v_add_f64 v[59:60], v[59:60], -v[55:56]
	;; [unrolled: 1-line block ×4, first 2 shown]
	v_add_f64 v[65:66], v[44:45], v[40:41]
	v_add_f64 v[67:68], v[46:47], v[42:43]
	v_add_f64 v[69:70], v[44:45], -v[40:41]
	v_add_f64 v[71:72], v[46:47], -v[42:43]
	v_add_f64 v[48:49], v[53:54], v[48:49]
	v_add_f64 v[50:51], v[55:56], v[50:51]
	v_add_f64 v[40:41], v[40:41], -v[32:33]
	v_add_f64 v[42:43], v[42:43], -v[34:35]
	;; [unrolled: 1-line block ×4, first 2 shown]
	v_add_f64 v[32:33], v[65:66], v[32:33]
	v_add_f64 v[34:35], v[67:68], v[34:35]
	;; [unrolled: 1-line block ×4, first 2 shown]
	v_mul_f64 v[53:54], v[57:58], s[8:9]
	v_mul_f64 v[55:56], v[59:60], s[8:9]
	;; [unrolled: 1-line block ×8, first 2 shown]
	v_fma_f64 v[48:49], v[48:49], s[16:17], v[28:29]
	v_fma_f64 v[50:51], v[50:51], s[16:17], v[30:31]
	;; [unrolled: 1-line block ×4, first 2 shown]
	v_fma_f64 v[57:58], v[61:62], s[18:19], -v[57:58]
	v_fma_f64 v[59:60], v[63:64], s[18:19], -v[59:60]
	;; [unrolled: 1-line block ×4, first 2 shown]
	v_fma_f64 v[61:62], v[44:45], s[20:21], v[65:66]
	v_fma_f64 v[63:64], v[46:47], s[20:21], v[67:68]
	;; [unrolled: 1-line block ×4, first 2 shown]
	v_fma_f64 v[40:41], v[40:41], s[28:29], -v[65:66]
	v_fma_f64 v[42:43], v[42:43], s[28:29], -v[67:68]
	v_add_f64 v[65:66], v[36:37], v[48:49]
	v_add_f64 v[67:68], v[38:39], v[50:51]
	;; [unrolled: 1-line block ×6, first 2 shown]
	v_fma_f64 v[53:54], v[34:35], s[24:25], v[63:64]
	v_fma_f64 v[55:56], v[32:33], s[24:25], v[61:62]
	;; [unrolled: 1-line block ×6, first 2 shown]
	s_barrier
	v_add_f64 v[32:33], v[65:66], v[53:54]
	v_add_f64 v[34:35], v[67:68], -v[55:56]
	v_add_f64 v[36:37], v[48:49], v[61:62]
	v_add_f64 v[38:39], v[50:51], -v[63:64]
	v_add_f64 v[40:41], v[57:58], -v[44:45]
	v_add_f64 v[42:43], v[46:47], v[59:60]
	v_add_f64 v[44:45], v[57:58], v[44:45]
	v_add_f64 v[46:47], v[59:60], -v[46:47]
	v_add_f64 v[48:49], v[48:49], -v[61:62]
	v_add_f64 v[50:51], v[63:64], v[50:51]
	v_add_f64 v[53:54], v[65:66], -v[53:54]
	v_add_f64 v[55:56], v[55:56], v[67:68]
	v_mul_lo_u16_e32 v57, 7, v79
	v_lshl_add_u32 v83, v57, 4, v52
	ds_write_b128 v83, v[28:31]
	ds_write_b128 v83, v[32:35] offset:16
	ds_write_b128 v83, v[36:39] offset:32
	;; [unrolled: 1-line block ×6, first 2 shown]
	v_mov_b32_e32 v28, 37
	v_mul_lo_u16_sdwa v28, v79, v28 dst_sel:DWORD dst_unused:UNUSED_PAD src0_sel:BYTE_0 src1_sel:DWORD
	v_sub_u16_sdwa v29, v79, v28 dst_sel:DWORD dst_unused:UNUSED_PAD src0_sel:DWORD src1_sel:BYTE_1
	v_lshrrev_b16_e32 v29, 1, v29
	v_and_b32_e32 v29, 0x7f, v29
	v_add_u16_sdwa v28, v29, v28 dst_sel:DWORD dst_unused:UNUSED_PAD src0_sel:DWORD src1_sel:BYTE_1
	v_lshrrev_b16_e32 v75, 2, v28
	v_mul_lo_u16_e32 v28, 7, v75
	v_sub_u16_e32 v106, v79, v28
	v_mov_b32_e32 v28, 6
	v_mul_u32_u24_sdwa v28, v106, v28 dst_sel:DWORD dst_unused:UNUSED_PAD src0_sel:BYTE_0 src1_sel:DWORD
	v_lshlrev_b32_e32 v53, 4, v28
	s_waitcnt lgkmcnt(0)
	s_barrier
	global_load_dwordx4 v[32:35], v53, s[10:11]
	global_load_dwordx4 v[28:31], v53, s[10:11] offset:16
	global_load_dwordx4 v[40:43], v53, s[10:11] offset:80
	;; [unrolled: 1-line block ×5, first 2 shown]
	ds_read_b128 v[53:56], v80 offset:784
	ds_read_b128 v[57:60], v80 offset:1568
	;; [unrolled: 1-line block ×3, first 2 shown]
	ds_read_b128 v[65:68], v80
	ds_read_b128 v[69:72], v80 offset:3136
	ds_read_b128 v[84:87], v80 offset:3920
	;; [unrolled: 1-line block ×3, first 2 shown]
	s_waitcnt vmcnt(0) lgkmcnt(0)
	s_barrier
	v_mul_f64 v[73:74], v[55:56], v[34:35]
	v_mul_f64 v[92:93], v[53:54], v[34:35]
	v_mul_f64 v[94:95], v[59:60], v[30:31]
	v_mul_f64 v[96:97], v[57:58], v[30:31]
	v_mul_f64 v[98:99], v[86:87], v[50:51]
	v_mul_f64 v[100:101], v[84:85], v[50:51]
	v_mul_f64 v[102:103], v[71:72], v[46:47]
	v_mul_f64 v[104:105], v[69:70], v[46:47]
	v_fma_f64 v[53:54], v[53:54], v[32:33], -v[73:74]
	v_fma_f64 v[55:56], v[55:56], v[32:33], v[92:93]
	v_mul_f64 v[73:74], v[90:91], v[42:43]
	v_mul_f64 v[92:93], v[88:89], v[42:43]
	v_fma_f64 v[57:58], v[57:58], v[28:29], -v[94:95]
	v_fma_f64 v[59:60], v[59:60], v[28:29], v[96:97]
	v_mul_f64 v[94:95], v[63:64], v[38:39]
	v_mul_f64 v[96:97], v[61:62], v[38:39]
	v_fma_f64 v[84:85], v[84:85], v[48:49], -v[98:99]
	v_fma_f64 v[86:87], v[86:87], v[48:49], v[100:101]
	v_fma_f64 v[73:74], v[88:89], v[40:41], -v[73:74]
	v_fma_f64 v[88:89], v[90:91], v[40:41], v[92:93]
	;; [unrolled: 2-line block ×4, first 2 shown]
	v_add_f64 v[90:91], v[53:54], v[73:74]
	v_add_f64 v[92:93], v[55:56], v[88:89]
	v_add_f64 v[53:54], v[53:54], -v[73:74]
	v_add_f64 v[55:56], v[55:56], -v[88:89]
	v_add_f64 v[73:74], v[57:58], v[84:85]
	v_add_f64 v[88:89], v[59:60], v[86:87]
	v_add_f64 v[57:58], v[57:58], -v[84:85]
	v_add_f64 v[59:60], v[59:60], -v[86:87]
	;; [unrolled: 4-line block ×4, first 2 shown]
	v_add_f64 v[90:91], v[90:91], -v[84:85]
	v_add_f64 v[92:93], v[92:93], -v[86:87]
	;; [unrolled: 1-line block ×4, first 2 shown]
	v_add_f64 v[98:99], v[61:62], v[57:58]
	v_add_f64 v[100:101], v[63:64], v[59:60]
	v_add_f64 v[102:103], v[61:62], -v[57:58]
	v_add_f64 v[104:105], v[63:64], -v[59:60]
	v_add_f64 v[69:70], v[84:85], v[69:70]
	v_add_f64 v[71:72], v[86:87], v[71:72]
	v_add_f64 v[57:58], v[57:58], -v[53:54]
	v_add_f64 v[59:60], v[59:60], -v[55:56]
	;; [unrolled: 1-line block ×4, first 2 shown]
	v_add_f64 v[84:85], v[98:99], v[53:54]
	v_add_f64 v[86:87], v[100:101], v[55:56]
	;; [unrolled: 1-line block ×4, first 2 shown]
	v_mul_f64 v[65:66], v[90:91], s[8:9]
	v_mul_f64 v[67:68], v[92:93], s[8:9]
	;; [unrolled: 1-line block ×8, first 2 shown]
	v_fma_f64 v[69:70], v[69:70], s[16:17], v[53:54]
	v_fma_f64 v[71:72], v[71:72], s[16:17], v[55:56]
	;; [unrolled: 1-line block ×4, first 2 shown]
	v_fma_f64 v[90:91], v[94:95], s[18:19], -v[90:91]
	v_fma_f64 v[92:93], v[96:97], s[18:19], -v[92:93]
	;; [unrolled: 1-line block ×4, first 2 shown]
	v_fma_f64 v[94:95], v[61:62], s[20:21], v[98:99]
	v_fma_f64 v[96:97], v[63:64], s[20:21], v[100:101]
	;; [unrolled: 1-line block ×4, first 2 shown]
	v_fma_f64 v[57:58], v[57:58], s[28:29], -v[98:99]
	v_fma_f64 v[59:60], v[59:60], s[28:29], -v[100:101]
	v_add_f64 v[73:74], v[73:74], v[69:70]
	v_add_f64 v[98:99], v[88:89], v[71:72]
	v_fma_f64 v[94:95], v[84:85], s[24:25], v[94:95]
	v_fma_f64 v[96:97], v[86:87], s[24:25], v[96:97]
	v_add_f64 v[88:89], v[90:91], v[69:70]
	v_add_f64 v[90:91], v[92:93], v[71:72]
	;; [unrolled: 1-line block ×4, first 2 shown]
	v_fma_f64 v[102:103], v[86:87], s[24:25], v[63:64]
	v_fma_f64 v[104:105], v[84:85], s[24:25], v[61:62]
	;; [unrolled: 1-line block ×4, first 2 shown]
	v_add_f64 v[57:58], v[96:97], v[73:74]
	v_add_f64 v[59:60], v[98:99], -v[94:95]
	v_add_f64 v[61:62], v[102:103], v[92:93]
	v_add_f64 v[63:64], v[100:101], -v[104:105]
	v_add_f64 v[65:66], v[88:89], -v[69:70]
	v_add_f64 v[67:68], v[71:72], v[90:91]
	v_add_f64 v[69:70], v[69:70], v[88:89]
	v_add_f64 v[71:72], v[90:91], -v[71:72]
	v_add_f64 v[85:86], v[92:93], -v[102:103]
	v_add_f64 v[87:88], v[104:105], v[100:101]
	v_add_f64 v[89:90], v[73:74], -v[96:97]
	v_mul_u32_u24_e32 v73, 49, v75
	v_add_f64 v[91:92], v[94:95], v[98:99]
	v_add_u32_sdwa v73, v73, v106 dst_sel:DWORD dst_unused:UNUSED_PAD src0_sel:DWORD src1_sel:BYTE_0
	v_lshl_add_u32 v84, v73, 4, v52
	ds_write_b128 v84, v[53:56]
	ds_write_b128 v84, v[57:60] offset:112
	ds_write_b128 v84, v[61:64] offset:224
	;; [unrolled: 1-line block ×6, first 2 shown]
	v_mov_b32_e32 v53, s11
	v_mov_b32_e32 v52, s10
	v_mad_u64_u32 v[85:86], s[10:11], v79, s30, v[52:53]
	s_waitcnt lgkmcnt(0)
	s_barrier
	global_load_dwordx4 v[56:59], v[85:86], off offset:672
	global_load_dwordx4 v[52:55], v[85:86], off offset:688
	;; [unrolled: 1-line block ×6, first 2 shown]
	ds_read_b128 v[85:88], v80 offset:784
	ds_read_b128 v[89:92], v80 offset:1568
	;; [unrolled: 1-line block ×6, first 2 shown]
	s_movk_i32 s10, 0x1570
	s_waitcnt vmcnt(5) lgkmcnt(5)
	v_mul_f64 v[109:110], v[87:88], v[58:59]
	s_waitcnt vmcnt(4) lgkmcnt(4)
	v_mul_f64 v[113:114], v[91:92], v[54:55]
	v_mul_f64 v[115:116], v[89:90], v[54:55]
	;; [unrolled: 1-line block ×3, first 2 shown]
	s_waitcnt vmcnt(3) lgkmcnt(2)
	v_mul_f64 v[117:118], v[99:100], v[66:67]
	v_mul_f64 v[119:120], v[97:98], v[66:67]
	s_waitcnt vmcnt(0) lgkmcnt(1)
	v_mul_f64 v[121:122], v[103:104], v[70:71]
	v_fma_f64 v[85:86], v[85:86], v[56:57], -v[109:110]
	v_fma_f64 v[89:90], v[89:90], v[52:53], -v[113:114]
	v_fma_f64 v[91:92], v[91:92], v[52:53], v[115:116]
	s_waitcnt lgkmcnt(0)
	v_mul_f64 v[113:114], v[107:108], v[74:75]
	v_mul_f64 v[115:116], v[105:106], v[74:75]
	v_fma_f64 v[87:88], v[87:88], v[56:57], v[111:112]
	v_mul_f64 v[109:110], v[95:96], v[62:63]
	v_mul_f64 v[111:112], v[93:94], v[62:63]
	v_fma_f64 v[97:98], v[97:98], v[64:65], -v[117:118]
	v_fma_f64 v[99:100], v[99:100], v[64:65], v[119:120]
	v_mul_f64 v[117:118], v[101:102], v[70:71]
	v_fma_f64 v[105:106], v[105:106], v[72:73], -v[113:114]
	v_fma_f64 v[107:108], v[107:108], v[72:73], v[115:116]
	v_fma_f64 v[101:102], v[101:102], v[68:69], -v[121:122]
	v_fma_f64 v[93:94], v[93:94], v[60:61], -v[109:110]
	v_fma_f64 v[95:96], v[95:96], v[60:61], v[111:112]
	v_add_f64 v[109:110], v[85:86], v[97:98]
	v_add_f64 v[111:112], v[87:88], v[99:100]
	v_fma_f64 v[103:104], v[103:104], v[68:69], v[117:118]
	v_add_f64 v[113:114], v[89:90], v[105:106]
	v_add_f64 v[115:116], v[91:92], v[107:108]
	v_add_f64 v[89:90], v[89:90], -v[105:106]
	v_add_f64 v[117:118], v[93:94], v[101:102]
	v_add_f64 v[91:92], v[91:92], -v[107:108]
	v_add_f64 v[93:94], v[101:102], -v[93:94]
	;; [unrolled: 1-line block ×3, first 2 shown]
	v_add_f64 v[119:120], v[95:96], v[103:104]
	v_add_f64 v[121:122], v[113:114], v[109:110]
	;; [unrolled: 1-line block ×3, first 2 shown]
	v_add_f64 v[95:96], v[103:104], -v[95:96]
	v_add_f64 v[99:100], v[87:88], -v[99:100]
	;; [unrolled: 1-line block ×6, first 2 shown]
	v_add_f64 v[103:104], v[117:118], v[121:122]
	v_add_f64 v[105:106], v[119:120], v[123:124]
	v_add_f64 v[113:114], v[117:118], -v[113:114]
	v_add_f64 v[117:118], v[93:94], v[89:90]
	v_add_f64 v[115:116], v[119:120], -v[115:116]
	;; [unrolled: 2-line block ×3, first 2 shown]
	v_add_f64 v[93:94], v[97:98], -v[93:94]
	v_add_f64 v[89:90], v[89:90], -v[97:98]
	v_mul_f64 v[109:110], v[109:110], s[8:9]
	v_mul_f64 v[111:112], v[111:112], s[8:9]
	v_add_f64 v[97:98], v[117:118], v[97:98]
	v_add_f64 v[117:118], v[95:96], -v[91:92]
	v_add_f64 v[95:96], v[99:100], -v[95:96]
	;; [unrolled: 1-line block ×3, first 2 shown]
	v_add_f64 v[99:100], v[119:120], v[99:100]
	v_mul_f64 v[119:120], v[113:114], s[6:7]
	v_fma_f64 v[113:114], v[113:114], s[6:7], v[109:110]
	v_mul_f64 v[121:122], v[121:122], s[14:15]
	ds_read_b128 v[85:88], v80
	v_mul_f64 v[117:118], v[117:118], s[14:15]
	s_mov_b32 s15, 0x3fe11646
	v_fma_f64 v[119:120], v[101:102], s[18:19], -v[119:120]
	v_fma_f64 v[101:102], v[101:102], s[22:23], -v[109:110]
	v_mul_f64 v[109:110], v[115:116], s[6:7]
	v_fma_f64 v[115:116], v[115:116], s[6:7], v[111:112]
	s_waitcnt lgkmcnt(0)
	v_add_f64 v[85:86], v[85:86], v[103:104]
	v_add_f64 v[87:88], v[87:88], v[105:106]
	v_fma_f64 v[109:110], v[107:108], s[18:19], -v[109:110]
	v_fma_f64 v[107:108], v[107:108], s[22:23], -v[111:112]
	v_mul_f64 v[111:112], v[89:90], s[12:13]
	v_fma_f64 v[89:90], v[89:90], s[28:29], -v[121:122]
	v_fma_f64 v[121:122], v[93:94], s[20:21], v[121:122]
	v_fma_f64 v[103:104], v[103:104], s[16:17], v[85:86]
	;; [unrolled: 1-line block ×4, first 2 shown]
	v_mul_f64 v[111:112], v[91:92], s[12:13]
	v_fma_f64 v[91:92], v[91:92], s[28:29], -v[117:118]
	v_fma_f64 v[117:118], v[95:96], s[20:21], v[117:118]
	v_add_f64 v[109:110], v[109:110], v[105:106]
	v_add_f64 v[125:126], v[101:102], v[103:104]
	;; [unrolled: 1-line block ×3, first 2 shown]
	v_fma_f64 v[123:124], v[97:98], s[24:25], v[89:90]
	v_fma_f64 v[127:128], v[97:98], s[24:25], v[93:94]
	;; [unrolled: 1-line block ×3, first 2 shown]
	v_add_f64 v[111:112], v[113:114], v[103:104]
	v_add_f64 v[113:114], v[115:116], v[105:106]
	v_add_f64 v[115:116], v[119:120], v[103:104]
	v_fma_f64 v[117:118], v[99:100], s[24:25], v[117:118]
	v_fma_f64 v[119:120], v[97:98], s[24:25], v[121:122]
	;; [unrolled: 1-line block ×3, first 2 shown]
	v_add_f64 v[103:104], v[107:108], -v[127:128]
	v_fma_f64 v[105:106], v[99:100], s[24:25], v[95:96]
	v_add_f64 v[95:96], v[123:124], v[109:110]
	v_add_f64 v[99:100], v[109:110], -v[123:124]
	v_add_f64 v[107:108], v[127:128], v[107:108]
	v_add_f64 v[89:90], v[117:118], v[111:112]
	v_add_f64 v[91:92], v[113:114], -v[119:120]
	v_add_f64 v[93:94], v[115:116], -v[121:122]
	v_add_f64 v[97:98], v[121:122], v[115:116]
	v_add_f64 v[101:102], v[105:106], v[125:126]
	v_add_f64 v[105:106], v[125:126], -v[105:106]
	v_add_f64 v[109:110], v[111:112], -v[117:118]
	v_add_f64 v[111:112], v[119:120], v[113:114]
	ds_write_b128 v80, v[85:88]
	ds_write_b128 v80, v[89:92] offset:784
	ds_write_b128 v80, v[101:104] offset:1568
	;; [unrolled: 1-line block ×6, first 2 shown]
	s_waitcnt lgkmcnt(0)
	s_barrier
	global_load_dwordx4 v[85:88], v[77:78], off offset:1392
	v_add_co_u32_e32 v77, vcc, s10, v81
	v_addc_co_u32_e32 v78, vcc, 0, v82, vcc
	global_load_dwordx4 v[89:92], v[77:78], off offset:784
	global_load_dwordx4 v[93:96], v[77:78], off offset:1568
	global_load_dwordx4 v[97:100], v[77:78], off offset:2352
	global_load_dwordx4 v[101:104], v[77:78], off offset:3136
	global_load_dwordx4 v[105:108], v[77:78], off offset:3920
	s_movk_i32 s10, 0x2000
	v_add_co_u32_e32 v77, vcc, s10, v81
	v_addc_co_u32_e32 v78, vcc, 0, v82, vcc
	global_load_dwordx4 v[109:112], v[77:78], off offset:2000
	ds_read_b128 v[113:116], v80
	ds_read_b128 v[117:120], v80 offset:784
	s_mov_b32 s25, 0xbfdc38aa
	s_waitcnt vmcnt(6) lgkmcnt(1)
	v_mul_f64 v[77:78], v[115:116], v[87:88]
	v_mul_f64 v[81:82], v[113:114], v[87:88]
	v_fma_f64 v[113:114], v[113:114], v[85:86], -v[77:78]
	v_fma_f64 v[115:116], v[115:116], v[85:86], v[81:82]
	s_waitcnt vmcnt(5) lgkmcnt(0)
	v_mul_f64 v[77:78], v[119:120], v[91:92]
	v_mul_f64 v[81:82], v[117:118], v[91:92]
	ds_read_b128 v[85:88], v80 offset:1568
	v_fma_f64 v[117:118], v[117:118], v[89:90], -v[77:78]
	v_fma_f64 v[119:120], v[119:120], v[89:90], v[81:82]
	ds_read_b128 v[89:92], v80 offset:2352
	s_waitcnt vmcnt(4) lgkmcnt(1)
	v_mul_f64 v[77:78], v[87:88], v[95:96]
	v_mul_f64 v[81:82], v[85:86], v[95:96]
	v_fma_f64 v[85:86], v[85:86], v[93:94], -v[77:78]
	v_fma_f64 v[87:88], v[87:88], v[93:94], v[81:82]
	s_waitcnt vmcnt(3) lgkmcnt(0)
	v_mul_f64 v[77:78], v[91:92], v[99:100]
	v_mul_f64 v[81:82], v[89:90], v[99:100]
	ds_read_b128 v[93:96], v80 offset:3136
	v_fma_f64 v[89:90], v[89:90], v[97:98], -v[77:78]
	v_fma_f64 v[91:92], v[91:92], v[97:98], v[81:82]
	ds_read_b128 v[97:100], v80 offset:3920
	s_waitcnt vmcnt(2) lgkmcnt(1)
	v_mul_f64 v[77:78], v[95:96], v[103:104]
	v_mul_f64 v[81:82], v[93:94], v[103:104]
	v_fma_f64 v[93:94], v[93:94], v[101:102], -v[77:78]
	v_fma_f64 v[95:96], v[95:96], v[101:102], v[81:82]
	s_waitcnt vmcnt(1) lgkmcnt(0)
	v_mul_f64 v[77:78], v[99:100], v[107:108]
	v_mul_f64 v[81:82], v[97:98], v[107:108]
	ds_read_b128 v[101:104], v80 offset:4704
	v_fma_f64 v[97:98], v[97:98], v[105:106], -v[77:78]
	v_fma_f64 v[99:100], v[99:100], v[105:106], v[81:82]
	s_waitcnt vmcnt(0) lgkmcnt(0)
	v_mul_f64 v[77:78], v[103:104], v[111:112]
	v_mul_f64 v[81:82], v[101:102], v[111:112]
	v_fma_f64 v[101:102], v[101:102], v[109:110], -v[77:78]
	v_fma_f64 v[103:104], v[103:104], v[109:110], v[81:82]
	ds_write_b128 v80, v[113:116]
	ds_write_b128 v80, v[117:120] offset:784
	ds_write_b128 v80, v[85:88] offset:1568
	;; [unrolled: 1-line block ×6, first 2 shown]
	s_waitcnt lgkmcnt(0)
	s_barrier
	ds_read_b128 v[85:88], v80
	ds_read_b128 v[89:92], v80 offset:784
	ds_read_b128 v[93:96], v80 offset:4704
	;; [unrolled: 1-line block ×6, first 2 shown]
	s_waitcnt lgkmcnt(4)
	v_add_f64 v[77:78], v[89:90], v[93:94]
	v_add_f64 v[81:82], v[91:92], v[95:96]
	v_add_f64 v[89:90], v[89:90], -v[93:94]
	v_add_f64 v[91:92], v[91:92], -v[95:96]
	s_waitcnt lgkmcnt(0)
	v_add_f64 v[93:94], v[97:98], v[109:110]
	v_add_f64 v[95:96], v[99:100], v[111:112]
	v_add_f64 v[97:98], v[97:98], -v[109:110]
	v_add_f64 v[109:110], v[101:102], v[105:106]
	v_add_f64 v[99:100], v[99:100], -v[111:112]
	;; [unrolled: 2-line block ×3, first 2 shown]
	v_add_f64 v[103:104], v[107:108], -v[103:104]
	v_add_f64 v[105:106], v[93:94], v[77:78]
	v_add_f64 v[107:108], v[95:96], v[81:82]
	v_add_f64 v[113:114], v[93:94], -v[77:78]
	v_add_f64 v[77:78], v[77:78], -v[109:110]
	;; [unrolled: 1-line block ×6, first 2 shown]
	v_add_f64 v[117:118], v[101:102], v[97:98]
	v_add_f64 v[119:120], v[103:104], v[99:100]
	v_add_f64 v[121:122], v[101:102], -v[97:98]
	v_add_f64 v[105:106], v[109:110], v[105:106]
	v_add_f64 v[109:110], v[103:104], -v[99:100]
	;; [unrolled: 2-line block ×3, first 2 shown]
	v_add_f64 v[99:100], v[99:100], -v[91:92]
	v_mul_f64 v[77:78], v[77:78], s[8:9]
	v_mul_f64 v[111:112], v[93:94], s[6:7]
	v_add_f64 v[101:102], v[89:90], -v[101:102]
	v_add_f64 v[103:104], v[91:92], -v[103:104]
	v_add_f64 v[89:90], v[117:118], v[89:90]
	v_add_f64 v[91:92], v[119:120], v[91:92]
	;; [unrolled: 1-line block ×4, first 2 shown]
	v_mul_f64 v[81:82], v[81:82], s[8:9]
	v_mul_f64 v[117:118], v[95:96], s[6:7]
	;; [unrolled: 1-line block ×5, first 2 shown]
	v_fma_f64 v[93:94], v[93:94], s[6:7], v[77:78]
	v_fma_f64 v[111:112], v[113:114], s[18:19], -v[111:112]
	v_fma_f64 v[77:78], v[113:114], s[22:23], -v[77:78]
	v_mul_f64 v[113:114], v[99:100], s[28:29]
	v_fma_f64 v[105:106], v[105:106], s[16:17], v[85:86]
	v_fma_f64 v[107:108], v[107:108], s[16:17], v[87:88]
	;; [unrolled: 1-line block ×3, first 2 shown]
	v_fma_f64 v[117:118], v[115:116], s[18:19], -v[117:118]
	v_fma_f64 v[81:82], v[115:116], s[22:23], -v[81:82]
	v_fma_f64 v[115:116], v[101:102], s[26:27], v[119:120]
	v_fma_f64 v[97:98], v[97:98], s[12:13], -v[119:120]
	v_fma_f64 v[119:120], v[103:104], s[26:27], v[109:110]
	v_fma_f64 v[101:102], v[101:102], s[20:21], v[121:122]
	;; [unrolled: 1-line block ×3, first 2 shown]
	v_fma_f64 v[99:100], v[99:100], s[12:13], -v[109:110]
	v_add_f64 v[109:110], v[93:94], v[105:106]
	v_add_f64 v[113:114], v[95:96], v[107:108]
	v_fma_f64 v[115:116], v[89:90], s[24:25], v[115:116]
	v_add_f64 v[111:112], v[111:112], v[105:106]
	v_fma_f64 v[119:120], v[91:92], s[24:25], v[119:120]
	v_add_f64 v[117:118], v[117:118], v[107:108]
	v_add_f64 v[77:78], v[77:78], v[105:106]
	;; [unrolled: 1-line block ×3, first 2 shown]
	v_fma_f64 v[105:106], v[91:92], s[24:25], v[103:104]
	v_fma_f64 v[107:108], v[89:90], s[24:25], v[101:102]
	;; [unrolled: 1-line block ×4, first 2 shown]
	v_add_f64 v[89:90], v[109:110], v[119:120]
	v_add_f64 v[91:92], v[113:114], -v[115:116]
	v_add_f64 v[109:110], v[109:110], -v[119:120]
	v_add_f64 v[93:94], v[77:78], v[105:106]
	v_add_f64 v[95:96], v[81:82], -v[107:108]
	v_add_f64 v[97:98], v[111:112], -v[101:102]
	v_add_f64 v[99:100], v[103:104], v[117:118]
	v_add_f64 v[101:102], v[111:112], v[101:102]
	v_add_f64 v[103:104], v[117:118], -v[103:104]
	v_add_f64 v[105:106], v[77:78], -v[105:106]
	v_add_f64 v[107:108], v[107:108], v[81:82]
	v_add_f64 v[111:112], v[115:116], v[113:114]
	s_barrier
	ds_write_b128 v83, v[85:88]
	ds_write_b128 v83, v[89:92] offset:16
	ds_write_b128 v83, v[93:96] offset:32
	;; [unrolled: 1-line block ×6, first 2 shown]
	s_waitcnt lgkmcnt(0)
	s_barrier
	ds_read_b128 v[85:88], v80 offset:784
	ds_read_b128 v[89:92], v80 offset:1568
	;; [unrolled: 1-line block ×3, first 2 shown]
	ds_read_b128 v[97:100], v80
	ds_read_b128 v[101:104], v80 offset:3136
	ds_read_b128 v[105:108], v80 offset:3920
	;; [unrolled: 1-line block ×3, first 2 shown]
	s_waitcnt lgkmcnt(0)
	v_mul_f64 v[77:78], v[34:35], v[87:88]
	v_mul_f64 v[34:35], v[34:35], v[85:86]
	v_mul_f64 v[81:82], v[30:31], v[91:92]
	v_mul_f64 v[30:31], v[30:31], v[89:90]
	s_barrier
	v_fma_f64 v[77:78], v[32:33], v[85:86], v[77:78]
	v_fma_f64 v[32:33], v[32:33], v[87:88], -v[34:35]
	v_fma_f64 v[34:35], v[28:29], v[89:90], v[81:82]
	v_fma_f64 v[28:29], v[28:29], v[91:92], -v[30:31]
	v_mul_f64 v[30:31], v[42:43], v[111:112]
	v_mul_f64 v[42:43], v[42:43], v[109:110]
	;; [unrolled: 1-line block ×8, first 2 shown]
	v_fma_f64 v[30:31], v[40:41], v[109:110], v[30:31]
	v_fma_f64 v[40:41], v[40:41], v[111:112], -v[42:43]
	v_fma_f64 v[42:43], v[36:37], v[93:94], v[81:82]
	v_fma_f64 v[36:37], v[36:37], v[95:96], -v[38:39]
	;; [unrolled: 2-line block ×4, first 2 shown]
	v_add_f64 v[46:47], v[77:78], v[30:31]
	v_add_f64 v[81:82], v[32:33], v[40:41]
	v_add_f64 v[30:31], v[77:78], -v[30:31]
	v_add_f64 v[32:33], v[32:33], -v[40:41]
	v_add_f64 v[40:41], v[34:35], v[38:39]
	v_add_f64 v[77:78], v[28:29], v[48:49]
	v_add_f64 v[34:35], v[34:35], -v[38:39]
	v_add_f64 v[28:29], v[28:29], -v[48:49]
	;; [unrolled: 4-line block ×4, first 2 shown]
	v_add_f64 v[46:47], v[46:47], -v[38:39]
	v_add_f64 v[81:82], v[81:82], -v[48:49]
	;; [unrolled: 1-line block ×4, first 2 shown]
	v_add_f64 v[89:90], v[42:43], v[34:35]
	v_add_f64 v[91:92], v[36:37], v[28:29]
	v_add_f64 v[93:94], v[42:43], -v[34:35]
	v_add_f64 v[95:96], v[36:37], -v[28:29]
	v_add_f64 v[38:39], v[38:39], v[44:45]
	v_add_f64 v[44:45], v[48:49], v[50:51]
	v_add_f64 v[34:35], v[34:35], -v[30:31]
	v_add_f64 v[48:49], v[28:29], -v[32:33]
	;; [unrolled: 1-line block ×4, first 2 shown]
	v_add_f64 v[50:51], v[89:90], v[30:31]
	v_add_f64 v[32:33], v[91:92], v[32:33]
	;; [unrolled: 1-line block ×4, first 2 shown]
	v_mul_f64 v[46:47], v[46:47], s[8:9]
	v_mul_f64 v[81:82], v[81:82], s[8:9]
	;; [unrolled: 1-line block ×8, first 2 shown]
	v_fma_f64 v[38:39], v[38:39], s[16:17], v[28:29]
	v_fma_f64 v[44:45], v[44:45], s[16:17], v[30:31]
	;; [unrolled: 1-line block ×4, first 2 shown]
	v_fma_f64 v[89:90], v[85:86], s[18:19], -v[89:90]
	v_fma_f64 v[91:92], v[87:88], s[18:19], -v[91:92]
	;; [unrolled: 1-line block ×4, first 2 shown]
	v_fma_f64 v[85:86], v[42:43], s[26:27], v[93:94]
	v_fma_f64 v[87:88], v[36:37], s[26:27], v[95:96]
	;; [unrolled: 1-line block ×4, first 2 shown]
	v_fma_f64 v[34:35], v[34:35], s[12:13], -v[93:94]
	v_fma_f64 v[48:49], v[48:49], s[12:13], -v[95:96]
	v_add_f64 v[93:94], v[40:41], v[38:39]
	v_add_f64 v[77:78], v[77:78], v[44:45]
	v_fma_f64 v[97:98], v[50:51], s[24:25], v[85:86]
	v_fma_f64 v[87:88], v[32:33], s[24:25], v[87:88]
	v_add_f64 v[95:96], v[46:47], v[38:39]
	v_add_f64 v[81:82], v[81:82], v[44:45]
	v_fma_f64 v[85:86], v[32:33], s[24:25], v[36:37]
	v_fma_f64 v[99:100], v[50:51], s[24:25], v[42:43]
	;; [unrolled: 4-line block ×3, first 2 shown]
	v_add_f64 v[32:33], v[87:88], v[93:94]
	v_add_f64 v[34:35], v[77:78], -v[97:98]
	v_add_f64 v[36:37], v[85:86], v[95:96]
	v_add_f64 v[38:39], v[81:82], -v[99:100]
	v_add_f64 v[48:49], v[95:96], -v[85:86]
	v_add_f64 v[50:51], v[99:100], v[81:82]
	v_add_f64 v[40:41], v[89:90], -v[44:45]
	v_add_f64 v[42:43], v[46:47], v[91:92]
	v_add_f64 v[44:45], v[44:45], v[89:90]
	v_add_f64 v[46:47], v[91:92], -v[46:47]
	v_add_f64 v[85:86], v[93:94], -v[87:88]
	v_add_f64 v[87:88], v[97:98], v[77:78]
	ds_write_b128 v84, v[28:31]
	ds_write_b128 v84, v[32:35] offset:112
	ds_write_b128 v84, v[36:39] offset:224
	;; [unrolled: 1-line block ×6, first 2 shown]
	s_waitcnt lgkmcnt(0)
	s_barrier
	ds_read_b128 v[28:31], v80 offset:784
	ds_read_b128 v[32:35], v80 offset:1568
	ds_read_b128 v[36:39], v80 offset:2352
	ds_read_b128 v[40:43], v80
	ds_read_b128 v[44:47], v80 offset:3136
	ds_read_b128 v[48:51], v80 offset:3920
	;; [unrolled: 1-line block ×3, first 2 shown]
	s_waitcnt lgkmcnt(6)
	v_mul_f64 v[77:78], v[58:59], v[30:31]
	v_mul_f64 v[58:59], v[58:59], v[28:29]
	s_waitcnt lgkmcnt(5)
	v_mul_f64 v[85:86], v[54:55], v[34:35]
	v_mul_f64 v[54:55], v[54:55], v[32:33]
	v_fma_f64 v[28:29], v[56:57], v[28:29], v[77:78]
	v_fma_f64 v[30:31], v[56:57], v[30:31], -v[58:59]
	v_fma_f64 v[32:33], v[52:53], v[32:33], v[85:86]
	v_fma_f64 v[34:35], v[52:53], v[34:35], -v[54:55]
	s_waitcnt lgkmcnt(0)
	v_mul_f64 v[52:53], v[66:67], v[83:84]
	v_mul_f64 v[54:55], v[66:67], v[81:82]
	;; [unrolled: 1-line block ×8, first 2 shown]
	v_fma_f64 v[52:53], v[64:65], v[81:82], v[52:53]
	v_fma_f64 v[54:55], v[64:65], v[83:84], -v[54:55]
	v_fma_f64 v[36:37], v[60:61], v[36:37], v[56:57]
	v_fma_f64 v[38:39], v[60:61], v[38:39], -v[58:59]
	;; [unrolled: 2-line block ×4, first 2 shown]
	v_add_f64 v[56:57], v[28:29], v[52:53]
	v_add_f64 v[58:59], v[30:31], v[54:55]
	v_add_f64 v[28:29], v[28:29], -v[52:53]
	v_add_f64 v[30:31], v[30:31], -v[54:55]
	v_add_f64 v[52:53], v[32:33], v[48:49]
	v_add_f64 v[54:55], v[34:35], v[50:51]
	v_add_f64 v[32:33], v[32:33], -v[48:49]
	v_add_f64 v[34:35], v[34:35], -v[50:51]
	;; [unrolled: 4-line block ×4, first 2 shown]
	v_add_f64 v[56:57], v[56:57], -v[48:49]
	v_add_f64 v[58:59], v[58:59], -v[50:51]
	;; [unrolled: 1-line block ×4, first 2 shown]
	v_add_f64 v[64:65], v[36:37], v[32:33]
	v_add_f64 v[66:67], v[38:39], v[34:35]
	v_add_f64 v[68:69], v[36:37], -v[32:33]
	v_add_f64 v[70:71], v[38:39], -v[34:35]
	v_add_f64 v[44:45], v[48:49], v[44:45]
	v_add_f64 v[46:47], v[50:51], v[46:47]
	v_add_f64 v[32:33], v[32:33], -v[28:29]
	v_add_f64 v[34:35], v[34:35], -v[30:31]
	;; [unrolled: 1-line block ×4, first 2 shown]
	v_add_f64 v[48:49], v[64:65], v[28:29]
	v_add_f64 v[50:51], v[66:67], v[30:31]
	;; [unrolled: 1-line block ×4, first 2 shown]
	v_mul_f64 v[40:41], v[56:57], s[8:9]
	v_mul_f64 v[42:43], v[58:59], s[8:9]
	;; [unrolled: 1-line block ×8, first 2 shown]
	v_fma_f64 v[44:45], v[44:45], s[16:17], v[28:29]
	v_fma_f64 v[46:47], v[46:47], s[16:17], v[30:31]
	v_fma_f64 v[52:53], v[52:53], s[6:7], v[40:41]
	v_fma_f64 v[54:55], v[54:55], s[6:7], v[42:43]
	v_fma_f64 v[56:57], v[60:61], s[18:19], -v[56:57]
	v_fma_f64 v[58:59], v[62:63], s[18:19], -v[58:59]
	v_fma_f64 v[40:41], v[60:61], s[22:23], -v[40:41]
	v_fma_f64 v[42:43], v[62:63], s[22:23], -v[42:43]
	v_fma_f64 v[60:61], v[36:37], s[26:27], v[64:65]
	v_fma_f64 v[62:63], v[38:39], s[26:27], v[66:67]
	;; [unrolled: 1-line block ×4, first 2 shown]
	v_fma_f64 v[32:33], v[32:33], s[12:13], -v[64:65]
	v_fma_f64 v[34:35], v[34:35], s[12:13], -v[66:67]
	v_add_f64 v[52:53], v[52:53], v[44:45]
	v_add_f64 v[54:55], v[54:55], v[46:47]
	v_fma_f64 v[60:61], v[48:49], s[24:25], v[60:61]
	v_fma_f64 v[62:63], v[50:51], s[24:25], v[62:63]
	v_add_f64 v[64:65], v[40:41], v[44:45]
	v_add_f64 v[66:67], v[42:43], v[46:47]
	v_fma_f64 v[68:69], v[50:51], s[24:25], v[38:39]
	v_fma_f64 v[70:71], v[48:49], s[24:25], v[36:37]
	;; [unrolled: 4-line block ×3, first 2 shown]
	v_add_f64 v[32:33], v[62:63], v[52:53]
	v_add_f64 v[34:35], v[54:55], -v[60:61]
	v_add_f64 v[36:37], v[68:69], v[64:65]
	v_add_f64 v[38:39], v[66:67], -v[70:71]
	v_add_f64 v[48:49], v[64:65], -v[68:69]
	v_add_f64 v[50:51], v[70:71], v[66:67]
	v_add_f64 v[40:41], v[56:57], -v[44:45]
	v_add_f64 v[42:43], v[46:47], v[58:59]
	v_add_f64 v[44:45], v[44:45], v[56:57]
	v_add_f64 v[46:47], v[58:59], -v[46:47]
	v_add_f64 v[52:53], v[52:53], -v[62:63]
	v_add_f64 v[54:55], v[60:61], v[54:55]
	ds_write_b128 v80, v[28:31]
	ds_write_b128 v80, v[32:35] offset:784
	ds_write_b128 v80, v[36:39] offset:1568
	;; [unrolled: 1-line block ×6, first 2 shown]
	s_waitcnt lgkmcnt(0)
	s_barrier
	ds_read_b128 v[28:31], v80
	ds_read_b128 v[32:35], v80 offset:784
	v_mad_u64_u32 v[36:37], s[6:7], s2, v76, 0
	s_waitcnt lgkmcnt(1)
	v_mul_f64 v[38:39], v[26:27], v[30:31]
	v_mul_f64 v[26:27], v[26:27], v[28:29]
	v_mad_u64_u32 v[40:41], s[2:3], s3, v76, v[37:38]
	v_mad_u64_u32 v[41:42], s[2:3], s0, v79, 0
	v_fma_f64 v[28:29], v[24:25], v[28:29], v[38:39]
	v_fma_f64 v[26:27], v[24:25], v[30:31], -v[26:27]
	v_mov_b32_e32 v24, v42
	v_mad_u64_u32 v[30:31], s[2:3], s1, v79, v[24:25]
	s_mov_b32 s2, 0x515a4f1d
	s_mov_b32 s3, 0x3f67e225
	v_mov_b32_e32 v42, v30
	s_waitcnt lgkmcnt(0)
	v_mul_f64 v[30:31], v[14:15], v[34:35]
	v_mul_f64 v[14:15], v[14:15], v[32:33]
	v_mov_b32_e32 v37, v40
	v_mul_f64 v[24:25], v[28:29], s[2:3]
	v_mul_f64 v[26:27], v[26:27], s[2:3]
	v_lshlrev_b64 v[28:29], 4, v[36:37]
	v_mov_b32_e32 v36, s5
	v_add_co_u32_e32 v37, vcc, s4, v28
	v_fma_f64 v[30:31], v[12:13], v[32:33], v[30:31]
	v_fma_f64 v[32:33], v[12:13], v[34:35], -v[14:15]
	ds_read_b128 v[12:15], v80 offset:1568
	v_addc_co_u32_e32 v36, vcc, v36, v29, vcc
	v_lshlrev_b64 v[28:29], 4, v[41:42]
	s_mulk_i32 s1, 0x310
	v_add_co_u32_e32 v34, vcc, v37, v28
	v_addc_co_u32_e32 v35, vcc, v36, v29, vcc
	global_store_dwordx4 v[34:35], v[24:27], off
	s_mul_hi_u32 s4, s0, 0x310
	v_mul_f64 v[24:25], v[30:31], s[2:3]
	ds_read_b128 v[28:31], v80 offset:2352
	s_waitcnt lgkmcnt(1)
	v_mul_f64 v[36:37], v[18:19], v[14:15]
	v_mul_f64 v[18:19], v[18:19], v[12:13]
	;; [unrolled: 1-line block ×3, first 2 shown]
	s_add_i32 s1, s4, s1
	s_waitcnt lgkmcnt(0)
	v_mul_f64 v[32:33], v[6:7], v[30:31]
	v_mul_f64 v[6:7], v[6:7], v[28:29]
	s_mulk_i32 s0, 0x310
	v_mov_b32_e32 v38, s1
	v_fma_f64 v[12:13], v[16:17], v[12:13], v[36:37]
	v_fma_f64 v[14:15], v[16:17], v[14:15], -v[18:19]
	ds_read_b128 v[16:19], v80 offset:3136
	v_add_co_u32_e32 v34, vcc, s0, v34
	v_addc_co_u32_e32 v35, vcc, v35, v38, vcc
	global_store_dwordx4 v[34:35], v[24:27], off
	v_mul_f64 v[12:13], v[12:13], s[2:3]
	v_mul_f64 v[14:15], v[14:15], s[2:3]
	v_fma_f64 v[24:25], v[4:5], v[28:29], v[32:33]
	v_fma_f64 v[26:27], v[4:5], v[30:31], -v[6:7]
	ds_read_b128 v[4:7], v80 offset:3920
	s_waitcnt lgkmcnt(1)
	v_mul_f64 v[28:29], v[22:23], v[18:19]
	v_mul_f64 v[22:23], v[22:23], v[16:17]
	v_mov_b32_e32 v36, s1
	v_add_co_u32_e32 v30, vcc, s0, v34
	v_addc_co_u32_e32 v31, vcc, v35, v36, vcc
	global_store_dwordx4 v[30:31], v[12:15], off
	s_nop 0
	v_mul_f64 v[12:13], v[24:25], s[2:3]
	v_fma_f64 v[24:25], v[20:21], v[16:17], v[28:29]
	v_fma_f64 v[20:21], v[20:21], v[18:19], -v[22:23]
	ds_read_b128 v[16:19], v80 offset:4704
	v_mul_f64 v[14:15], v[26:27], s[2:3]
	v_mov_b32_e32 v26, s1
	v_add_co_u32_e32 v22, vcc, s0, v30
	v_addc_co_u32_e32 v23, vcc, v31, v26, vcc
	s_waitcnt lgkmcnt(1)
	v_mul_f64 v[26:27], v[2:3], v[6:7]
	v_mul_f64 v[2:3], v[2:3], v[4:5]
	s_waitcnt lgkmcnt(0)
	v_mul_f64 v[28:29], v[10:11], v[18:19]
	v_mul_f64 v[30:31], v[10:11], v[16:17]
	global_store_dwordx4 v[22:23], v[12:15], off
	v_mul_f64 v[10:11], v[24:25], s[2:3]
	v_mul_f64 v[12:13], v[20:21], s[2:3]
	v_mov_b32_e32 v15, s1
	v_fma_f64 v[4:5], v[0:1], v[4:5], v[26:27]
	v_fma_f64 v[2:3], v[0:1], v[6:7], -v[2:3]
	v_fma_f64 v[6:7], v[8:9], v[16:17], v[28:29]
	v_fma_f64 v[8:9], v[8:9], v[18:19], -v[30:31]
	v_add_co_u32_e32 v14, vcc, s0, v22
	v_addc_co_u32_e32 v15, vcc, v23, v15, vcc
	v_mul_f64 v[0:1], v[4:5], s[2:3]
	v_mul_f64 v[2:3], v[2:3], s[2:3]
	;; [unrolled: 1-line block ×4, first 2 shown]
	global_store_dwordx4 v[14:15], v[10:13], off
	v_add_co_u32_e32 v8, vcc, s0, v14
	v_mov_b32_e32 v10, s1
	v_addc_co_u32_e32 v9, vcc, v15, v10, vcc
	global_store_dwordx4 v[8:9], v[0:3], off
	s_nop 0
	v_mov_b32_e32 v1, s1
	v_add_co_u32_e32 v0, vcc, s0, v8
	v_addc_co_u32_e32 v1, vcc, v9, v1, vcc
	global_store_dwordx4 v[0:1], v[4:7], off
.LBB0_2:
	s_endpgm
	.section	.rodata,"a",@progbits
	.p2align	6, 0x0
	.amdhsa_kernel bluestein_single_fwd_len343_dim1_dp_op_CI_CI
		.amdhsa_group_segment_fixed_size 27440
		.amdhsa_private_segment_fixed_size 0
		.amdhsa_kernarg_size 104
		.amdhsa_user_sgpr_count 6
		.amdhsa_user_sgpr_private_segment_buffer 1
		.amdhsa_user_sgpr_dispatch_ptr 0
		.amdhsa_user_sgpr_queue_ptr 0
		.amdhsa_user_sgpr_kernarg_segment_ptr 1
		.amdhsa_user_sgpr_dispatch_id 0
		.amdhsa_user_sgpr_flat_scratch_init 0
		.amdhsa_user_sgpr_private_segment_size 0
		.amdhsa_uses_dynamic_stack 0
		.amdhsa_system_sgpr_private_segment_wavefront_offset 0
		.amdhsa_system_sgpr_workgroup_id_x 1
		.amdhsa_system_sgpr_workgroup_id_y 0
		.amdhsa_system_sgpr_workgroup_id_z 0
		.amdhsa_system_sgpr_workgroup_info 0
		.amdhsa_system_vgpr_workitem_id 0
		.amdhsa_next_free_vgpr 129
		.amdhsa_next_free_sgpr 31
		.amdhsa_reserve_vcc 1
		.amdhsa_reserve_flat_scratch 0
		.amdhsa_float_round_mode_32 0
		.amdhsa_float_round_mode_16_64 0
		.amdhsa_float_denorm_mode_32 3
		.amdhsa_float_denorm_mode_16_64 3
		.amdhsa_dx10_clamp 1
		.amdhsa_ieee_mode 1
		.amdhsa_fp16_overflow 0
		.amdhsa_exception_fp_ieee_invalid_op 0
		.amdhsa_exception_fp_denorm_src 0
		.amdhsa_exception_fp_ieee_div_zero 0
		.amdhsa_exception_fp_ieee_overflow 0
		.amdhsa_exception_fp_ieee_underflow 0
		.amdhsa_exception_fp_ieee_inexact 0
		.amdhsa_exception_int_div_zero 0
	.end_amdhsa_kernel
	.text
.Lfunc_end0:
	.size	bluestein_single_fwd_len343_dim1_dp_op_CI_CI, .Lfunc_end0-bluestein_single_fwd_len343_dim1_dp_op_CI_CI
                                        ; -- End function
	.section	.AMDGPU.csdata,"",@progbits
; Kernel info:
; codeLenInByte = 7712
; NumSgprs: 35
; NumVgprs: 129
; ScratchSize: 0
; MemoryBound: 0
; FloatMode: 240
; IeeeMode: 1
; LDSByteSize: 27440 bytes/workgroup (compile time only)
; SGPRBlocks: 4
; VGPRBlocks: 32
; NumSGPRsForWavesPerEU: 35
; NumVGPRsForWavesPerEU: 129
; Occupancy: 1
; WaveLimiterHint : 1
; COMPUTE_PGM_RSRC2:SCRATCH_EN: 0
; COMPUTE_PGM_RSRC2:USER_SGPR: 6
; COMPUTE_PGM_RSRC2:TRAP_HANDLER: 0
; COMPUTE_PGM_RSRC2:TGID_X_EN: 1
; COMPUTE_PGM_RSRC2:TGID_Y_EN: 0
; COMPUTE_PGM_RSRC2:TGID_Z_EN: 0
; COMPUTE_PGM_RSRC2:TIDIG_COMP_CNT: 0
	.type	__hip_cuid_3e1dffc7c18435f9,@object ; @__hip_cuid_3e1dffc7c18435f9
	.section	.bss,"aw",@nobits
	.globl	__hip_cuid_3e1dffc7c18435f9
__hip_cuid_3e1dffc7c18435f9:
	.byte	0                               ; 0x0
	.size	__hip_cuid_3e1dffc7c18435f9, 1

	.ident	"AMD clang version 19.0.0git (https://github.com/RadeonOpenCompute/llvm-project roc-6.4.0 25133 c7fe45cf4b819c5991fe208aaa96edf142730f1d)"
	.section	".note.GNU-stack","",@progbits
	.addrsig
	.addrsig_sym __hip_cuid_3e1dffc7c18435f9
	.amdgpu_metadata
---
amdhsa.kernels:
  - .args:
      - .actual_access:  read_only
        .address_space:  global
        .offset:         0
        .size:           8
        .value_kind:     global_buffer
      - .actual_access:  read_only
        .address_space:  global
        .offset:         8
        .size:           8
        .value_kind:     global_buffer
      - .actual_access:  read_only
        .address_space:  global
        .offset:         16
        .size:           8
        .value_kind:     global_buffer
      - .actual_access:  read_only
        .address_space:  global
        .offset:         24
        .size:           8
        .value_kind:     global_buffer
      - .actual_access:  read_only
        .address_space:  global
        .offset:         32
        .size:           8
        .value_kind:     global_buffer
      - .offset:         40
        .size:           8
        .value_kind:     by_value
      - .address_space:  global
        .offset:         48
        .size:           8
        .value_kind:     global_buffer
      - .address_space:  global
        .offset:         56
        .size:           8
        .value_kind:     global_buffer
      - .address_space:  global
        .offset:         64
        .size:           8
        .value_kind:     global_buffer
      - .address_space:  global
        .offset:         72
        .size:           8
        .value_kind:     global_buffer
      - .offset:         80
        .size:           4
        .value_kind:     by_value
      - .address_space:  global
        .offset:         88
        .size:           8
        .value_kind:     global_buffer
      - .address_space:  global
        .offset:         96
        .size:           8
        .value_kind:     global_buffer
    .group_segment_fixed_size: 27440
    .kernarg_segment_align: 8
    .kernarg_segment_size: 104
    .language:       OpenCL C
    .language_version:
      - 2
      - 0
    .max_flat_workgroup_size: 245
    .name:           bluestein_single_fwd_len343_dim1_dp_op_CI_CI
    .private_segment_fixed_size: 0
    .sgpr_count:     35
    .sgpr_spill_count: 0
    .symbol:         bluestein_single_fwd_len343_dim1_dp_op_CI_CI.kd
    .uniform_work_group_size: 1
    .uses_dynamic_stack: false
    .vgpr_count:     129
    .vgpr_spill_count: 0
    .wavefront_size: 64
amdhsa.target:   amdgcn-amd-amdhsa--gfx906
amdhsa.version:
  - 1
  - 2
...

	.end_amdgpu_metadata
